;; amdgpu-corpus repo=LLNL/RAJAPerf kind=compiled arch=gfx1250 opt=O3
	.amdgcn_target "amdgcn-amd-amdhsa--gfx1250"
	.amdhsa_code_object_version 6
	.section	.text._ZN8rajaperf4apps14Convection3DPAILm64EEEvPdS2_S2_S2_S2_S2_,"axG",@progbits,_ZN8rajaperf4apps14Convection3DPAILm64EEEvPdS2_S2_S2_S2_S2_,comdat
	.protected	_ZN8rajaperf4apps14Convection3DPAILm64EEEvPdS2_S2_S2_S2_S2_ ; -- Begin function _ZN8rajaperf4apps14Convection3DPAILm64EEEvPdS2_S2_S2_S2_S2_
	.globl	_ZN8rajaperf4apps14Convection3DPAILm64EEEvPdS2_S2_S2_S2_S2_
	.p2align	8
	.type	_ZN8rajaperf4apps14Convection3DPAILm64EEEvPdS2_S2_S2_S2_S2_,@function
_ZN8rajaperf4apps14Convection3DPAILm64EEEvPdS2_S2_S2_S2_S2_: ; @_ZN8rajaperf4apps14Convection3DPAILm64EEEvPdS2_S2_S2_S2_S2_
; %bb.0:
	s_clause 0x1
	s_load_b256 s[4:11], s[0:1], 0x0
	s_load_b128 s[12:15], s[0:1], 0x20
	s_wait_xcnt 0x0
	s_bfe_u32 s0, ttmp6, 0x4000c
	v_bfe_u32 v2, v0, 20, 10
	s_add_co_i32 s0, s0, 1
	s_and_b32 s1, ttmp6, 15
	s_mul_i32 s0, ttmp9, s0
	s_getreg_b32 s2, hwreg(HW_REG_IB_STS2, 6, 4)
	s_add_co_i32 s1, s1, s0
	v_cmp_lt_u32_e64 s0, 2, v2
	v_cmp_gt_u32_e32 vcc_lo, 3, v2
	v_bfe_u32 v3, v0, 10, 10
	v_and_b32_e32 v4, 0x3ff, v0
	s_cmp_eq_u32 s2, 0
	s_mov_b32 s17, 0
	s_cselect_b32 s16, ttmp9, s1
	s_and_saveexec_b32 s2, vcc_lo
	s_cbranch_execz .LBB0_3
; %bb.1:
	v_and_b32_e32 v1, 0x3ff, v0
	s_delay_alu instid0(VALU_DEP_1) | instskip(NEXT) | instid1(VALU_DEP_1)
	v_max_u32_e32 v5, v3, v1
	v_cmp_gt_u32_e64 s1, 3, v5
	s_and_b32 exec_lo, exec_lo, s1
	s_cbranch_execz .LBB0_3
; %bb.2:
	s_mul_u64 s[18:19], s[16:17], 0xd8
	v_mul_u32_u24_e32 v8, 24, v3
	s_wait_kmcnt 0x0
	s_add_nc_u64 s[12:13], s[12:13], s[18:19]
	v_dual_mov_b32 v9, 0 :: v_dual_lshlrev_b32 v10, 3, v1
	v_mad_co_u64_u32 v[6:7], null, 0x48, v2, s[12:13]
	v_mul_u32_u24_e32 v1, 0x48, v2
	s_delay_alu instid0(VALU_DEP_3) | instskip(NEXT) | instid1(VALU_DEP_2)
	v_mov_b32_e32 v11, v9
	v_add3_u32 v1, v1, v8, v10
	s_delay_alu instid0(VALU_DEP_4) | instskip(NEXT) | instid1(VALU_DEP_1)
	v_add_nc_u64_e32 v[6:7], v[6:7], v[8:9]
	v_add_nc_u64_e32 v[6:7], v[6:7], v[10:11]
	global_load_b64 v[6:7], v[6:7], off
	s_wait_loadcnt 0x0
	ds_store_b64 v1, v[6:7]
.LBB0_3:
	s_or_b32 exec_lo, exec_lo, s2
	s_wait_dscnt 0x0
	s_barrier_signal -1
	s_barrier_wait -1
	s_and_saveexec_b32 s1, vcc_lo
	s_delay_alu instid0(SALU_CYCLE_1)
	s_xor_b32 s3, exec_lo, s1
	s_cbranch_execz .LBB0_7
; %bb.4:
	v_and_b32_e32 v4, 0x3ff, v0
	v_cmp_gt_u32_e64 s1, 3, v3
	s_delay_alu instid0(VALU_DEP_2) | instskip(SKIP_1) | instid1(SALU_CYCLE_1)
	v_cmp_gt_u32_e64 s2, 4, v4
	s_and_b32 s2, s1, s2
	s_and_saveexec_b32 s1, s2
	s_cbranch_execz .LBB0_6
; %bb.5:
	s_wait_kmcnt 0x0
	s_clause 0x5
	global_load_b64 v[0:1], v4, s[4:5] scale_offset
	global_load_b64 v[10:11], v4, s[8:9] scale_offset
	global_load_b64 v[12:13], v4, s[4:5] offset:32 scale_offset
	global_load_b64 v[14:15], v4, s[8:9] offset:32 scale_offset
	;; [unrolled: 1-line block ×4, first 2 shown]
	v_mul_u32_u24_e32 v5, 24, v3
	s_delay_alu instid0(VALU_DEP_1)
	v_mad_u32_u24 v5, 0x48, v2, v5
	ds_load_2addr_b64 v[6:9], v5 offset1:1
	ds_load_b64 v[20:21], v5 offset:16
	v_mul_u32_u24_e32 v5, 0x60, v2
	s_wait_loadcnt_dscnt 0x501
	v_fma_f64 v[0:1], v[0:1], v[6:7], 0
	s_wait_loadcnt 0x4
	v_fma_f64 v[6:7], v[10:11], v[6:7], 0
	s_wait_loadcnt 0x3
	s_delay_alu instid0(VALU_DEP_2) | instskip(SKIP_1) | instid1(VALU_DEP_2)
	v_fmac_f64_e32 v[0:1], v[12:13], v[8:9]
	s_wait_loadcnt 0x2
	v_fmac_f64_e32 v[6:7], v[14:15], v[8:9]
	v_dual_lshlrev_b32 v8, 5, v3 :: v_dual_lshlrev_b32 v9, 3, v4
	s_delay_alu instid0(VALU_DEP_1) | instskip(SKIP_1) | instid1(VALU_DEP_4)
	v_add3_u32 v5, v5, v8, v9
	s_wait_loadcnt_dscnt 0x100
	v_fmac_f64_e32 v[0:1], v[16:17], v[20:21]
	s_wait_loadcnt 0x0
	s_delay_alu instid0(VALU_DEP_4)
	v_fmac_f64_e32 v[6:7], v[18:19], v[20:21]
	ds_store_2addr_stride64_b64 v5, v[0:1], v[6:7] offset0:1 offset1:2
.LBB0_6:
	s_or_b32 exec_lo, exec_lo, s1
.LBB0_7:
	s_and_not1_saveexec_b32 s1, s3
	s_delay_alu instid0(SALU_CYCLE_1)
	s_or_b32 exec_lo, exec_lo, s1
	s_wait_dscnt 0x0
	s_barrier_signal -1
	s_barrier_wait -1
	s_and_saveexec_b32 s2, vcc_lo
	s_cbranch_execz .LBB0_10
; %bb.8:
	v_or_b32_e32 v0, v4, v3
	s_delay_alu instid0(VALU_DEP_1)
	v_cmp_gt_u32_e64 s1, 4, v0
	s_and_b32 exec_lo, exec_lo, s1
	s_cbranch_execz .LBB0_10
; %bb.9:
	s_wait_kmcnt 0x0
	s_clause 0x5
	global_load_b64 v[0:1], v3, s[4:5] scale_offset
	global_load_b64 v[14:15], v3, s[8:9] scale_offset
	global_load_b64 v[16:17], v3, s[4:5] offset:32 scale_offset
	global_load_b64 v[18:19], v3, s[8:9] offset:32 scale_offset
	;; [unrolled: 1-line block ×4, first 2 shown]
	v_lshlrev_b32_e32 v5, 3, v4
	s_delay_alu instid0(VALU_DEP_1)
	v_mad_u32_u24 v26, 0x60, v2, v5
	ds_load_2addr_b64 v[6:9], v26 offset0:64 offset1:68
	ds_load_2addr_b64 v[10:13], v26 offset0:72 offset1:128
	s_wait_loadcnt_dscnt 0x501
	v_fma_f64 v[24:25], v[0:1], v[6:7], 0
	s_wait_loadcnt 0x4
	v_fma_f64 v[6:7], v[14:15], v[6:7], 0
	s_wait_dscnt 0x0
	v_fma_f64 v[0:1], v[0:1], v[12:13], 0
	ds_load_2addr_b64 v[12:15], v26 offset0:132 offset1:136
	s_wait_loadcnt 0x3
	v_fmac_f64_e32 v[24:25], v[16:17], v[8:9]
	s_wait_loadcnt 0x2
	v_fmac_f64_e32 v[6:7], v[18:19], v[8:9]
	s_wait_dscnt 0x0
	v_fmac_f64_e32 v[0:1], v[16:17], v[12:13]
	v_dual_lshlrev_b32 v8, 7, v2 :: v_dual_lshlrev_b32 v9, 5, v3
	s_delay_alu instid0(VALU_DEP_1)
	v_add3_u32 v5, v8, v5, v9
	s_wait_loadcnt 0x1
	v_fmac_f64_e32 v[24:25], v[20:21], v[10:11]
	s_wait_loadcnt 0x0
	v_fmac_f64_e32 v[6:7], v[22:23], v[10:11]
	v_fmac_f64_e32 v[0:1], v[20:21], v[14:15]
	ds_store_2addr_stride64_b64 v5, v[24:25], v[6:7] offset0:3 offset1:4
	ds_store_b64 v5, v[0:1] offset:2560
.LBB0_10:
	s_or_b32 exec_lo, exec_lo, s2
	v_cmp_gt_u32_e64 s1, 4, v4
	s_wait_dscnt 0x0
	s_barrier_signal -1
	s_barrier_wait -1
	s_and_saveexec_b32 s3, s1
	s_cbranch_execz .LBB0_13
; %bb.11:
	v_or_b32_e32 v0, v3, v2
	s_delay_alu instid0(VALU_DEP_1)
	v_cmp_gt_u32_e64 s2, 4, v0
	s_and_b32 exec_lo, exec_lo, s2
	s_cbranch_execz .LBB0_13
; %bb.12:
	s_wait_kmcnt 0x0
	s_clause 0x5
	global_load_b64 v[0:1], v2, s[8:9] scale_offset
	global_load_b64 v[18:19], v2, s[4:5] scale_offset
	global_load_b64 v[20:21], v2, s[8:9] offset:32 scale_offset
	global_load_b64 v[22:23], v2, s[4:5] offset:32 scale_offset
	;; [unrolled: 1-line block ×4, first 2 shown]
	v_lshlrev_b32_e32 v5, 5, v3
	s_delay_alu instid0(VALU_DEP_1) | instskip(NEXT) | instid1(VALU_DEP_1)
	v_lshl_add_u32 v5, v4, 3, v5
	v_add_nc_u32_e32 v10, 0x400, v5
	v_add_nc_u32_e32 v28, 0x800, v5
	ds_load_2addr_b64 v[6:9], v5 offset0:192 offset1:208
	ds_load_2addr_b64 v[10:13], v10 offset0:96 offset1:128
	;; [unrolled: 1-line block ×3, first 2 shown]
	s_wait_loadcnt_dscnt 0x502
	v_fma_f64 v[0:1], v[0:1], v[6:7], 0
	s_wait_loadcnt_dscnt 0x401
	v_fma_f64 v[6:7], v[18:19], v[12:13], 0
	s_wait_dscnt 0x0
	v_fma_f64 v[18:19], v[18:19], v[14:15], 0
	ds_load_2addr_b64 v[12:15], v28 offset0:16 offset1:32
	s_wait_loadcnt 0x3
	v_fmac_f64_e32 v[0:1], v[20:21], v[8:9]
	s_wait_loadcnt_dscnt 0x200
	v_fmac_f64_e32 v[6:7], v[22:23], v[12:13]
	v_fmac_f64_e32 v[18:19], v[22:23], v[16:17]
	ds_load_b64 v[8:9], v5 offset:2816
	v_lshl_add_u32 v5, v2, 7, v5
	s_wait_loadcnt 0x1
	v_fmac_f64_e32 v[0:1], v[24:25], v[10:11]
	s_wait_loadcnt 0x0
	v_fmac_f64_e32 v[6:7], v[26:27], v[14:15]
	s_wait_dscnt 0x0
	v_fmac_f64_e32 v[18:19], v[26:27], v[8:9]
	ds_store_2addr_stride64_b64 v5, v[0:1], v[6:7] offset1:1
	ds_store_b64 v5, v[18:19] offset:1024
.LBB0_13:
	s_or_b32 exec_lo, exec_lo, s3
	v_dual_mov_b32 v1, 0 :: v_dual_bitop2_b32 v0, v3, v4 bitop3:0x54
	s_mov_b32 s3, exec_lo
	s_wait_dscnt 0x0
	s_barrier_signal -1
	s_delay_alu instid0(VALU_DEP_1) | instskip(SKIP_1) | instid1(VALU_DEP_1)
	v_max_u32_e32 v0, v2, v0
	s_barrier_wait -1
	v_cmpx_gt_u32_e32 4, v0
	s_cbranch_execz .LBB0_15
; %bb.14:
	v_dual_lshlrev_b32 v0, 7, v2 :: v_dual_lshlrev_b32 v8, 5, v3
	v_dual_mov_b32 v9, v1 :: v_dual_lshlrev_b32 v10, 3, v4
	v_mov_b32_e32 v11, v1
	s_wait_kmcnt 0x0
	s_delay_alu instid0(VALU_DEP_3) | instskip(NEXT) | instid1(VALU_DEP_3)
	v_add_nc_u64_e32 v[6:7], s[10:11], v[0:1]
	v_add3_u32 v5, v0, v8, v10
	s_delay_alu instid0(VALU_DEP_2) | instskip(NEXT) | instid1(VALU_DEP_1)
	v_add_nc_u64_e32 v[6:7], v[6:7], v[8:9]
	v_add_nc_u64_e32 v[6:7], v[6:7], v[10:11]
	s_delay_alu instid0(VALU_DEP_1)
	v_mad_nc_u64_u32 v[6:7], 0x600, s16, v[6:7]
	s_clause 0x2
	global_load_b64 v[12:13], v[6:7], off offset:512
	global_load_b64 v[14:15], v[6:7], off
	global_load_b64 v[16:17], v[6:7], off offset:1024
	s_wait_xcnt 0x0
	ds_load_2addr_stride64_b64 v[6:9], v5 offset1:1
	s_wait_loadcnt_dscnt 0x200
	v_mul_f64_e32 v[0:1], v[12:13], v[8:9]
	ds_load_b64 v[8:9], v5 offset:1024
	s_wait_loadcnt_dscnt 0x100
	v_fmac_f64_e32 v[0:1], v[14:15], v[8:9]
	s_wait_loadcnt 0x0
	s_delay_alu instid0(VALU_DEP_1)
	v_fmac_f64_e32 v[0:1], v[16:17], v[6:7]
	ds_store_b64 v5, v[0:1] offset:1536
.LBB0_15:
	s_or_b32 exec_lo, exec_lo, s3
	s_wait_dscnt 0x0
	s_barrier_signal -1
	s_barrier_wait -1
	s_and_saveexec_b32 s3, s1
	s_cbranch_execz .LBB0_18
; %bb.16:
	v_cmp_gt_u32_e64 s2, 4, v3
	s_xor_b32 s0, s0, -1
	s_delay_alu instid0(SALU_CYCLE_1) | instskip(NEXT) | instid1(SALU_CYCLE_1)
	s_and_b32 s0, s2, s0
	s_and_b32 exec_lo, exec_lo, s0
	s_cbranch_execz .LBB0_18
; %bb.17:
	s_wait_kmcnt 0x0
	s_clause 0x3
	global_load_b64 v[0:1], v2, s[6:7] scale_offset
	global_load_b64 v[10:11], v2, s[6:7] offset:24 scale_offset
	global_load_b64 v[12:13], v2, s[6:7] offset:48 scale_offset
	;; [unrolled: 1-line block ×3, first 2 shown]
	v_lshlrev_b32_e32 v5, 5, v3
	s_delay_alu instid0(VALU_DEP_1) | instskip(SKIP_4) | instid1(VALU_DEP_1)
	v_lshl_add_u32 v5, v4, 3, v5
	ds_load_2addr_b64 v[6:9], v5 offset0:192 offset1:208
	s_wait_loadcnt_dscnt 0x300
	v_fma_f64 v[0:1], v[0:1], v[6:7], 0
	s_wait_loadcnt 0x2
	v_fmac_f64_e32 v[0:1], v[10:11], v[8:9]
	ds_load_2addr_b64 v[6:9], v5 offset0:224 offset1:240
	v_lshl_add_u32 v5, v2, 7, v5
	s_wait_loadcnt_dscnt 0x100
	v_fmac_f64_e32 v[0:1], v[12:13], v[6:7]
	s_wait_loadcnt 0x0
	s_delay_alu instid0(VALU_DEP_1)
	v_fmac_f64_e32 v[0:1], v[14:15], v[8:9]
	ds_store_b64 v5, v[0:1] offset:2048
.LBB0_18:
	s_or_b32 exec_lo, exec_lo, s3
	s_wait_dscnt 0x0
	s_barrier_signal -1
	s_barrier_wait -1
	s_and_saveexec_b32 s2, vcc_lo
	s_cbranch_execz .LBB0_21
; %bb.19:
	v_cmp_gt_u32_e64 s0, 3, v3
	s_and_b32 s0, s1, s0
	s_delay_alu instid0(SALU_CYCLE_1)
	s_and_b32 exec_lo, exec_lo, s0
	s_cbranch_execz .LBB0_21
; %bb.20:
	s_wait_kmcnt 0x0
	s_clause 0x3
	global_load_b64 v[0:1], v3, s[6:7] scale_offset
	global_load_b64 v[10:11], v3, s[6:7] offset:24 scale_offset
	global_load_b64 v[12:13], v3, s[6:7] offset:48 scale_offset
	;; [unrolled: 1-line block ×3, first 2 shown]
	v_lshlrev_b32_e32 v5, 3, v4
	s_delay_alu instid0(VALU_DEP_1) | instskip(NEXT) | instid1(VALU_DEP_1)
	v_lshl_add_u32 v6, v2, 7, v5
	v_add_nc_u32_e32 v16, 0x800, v6
	ds_load_2addr_b64 v[6:9], v16 offset1:4
	s_wait_loadcnt_dscnt 0x300
	v_fma_f64 v[0:1], v[0:1], v[6:7], 0
	s_wait_loadcnt 0x2
	s_delay_alu instid0(VALU_DEP_1)
	v_fmac_f64_e32 v[0:1], v[10:11], v[8:9]
	ds_load_2addr_b64 v[6:9], v16 offset0:8 offset1:12
	s_wait_loadcnt_dscnt 0x100
	v_fmac_f64_e32 v[0:1], v[12:13], v[6:7]
	v_mul_u32_u24_e32 v6, 0x60, v2
	v_lshlrev_b32_e32 v7, 5, v3
	s_delay_alu instid0(VALU_DEP_1) | instskip(SKIP_1) | instid1(VALU_DEP_4)
	v_add3_u32 v5, v6, v5, v7
	s_wait_loadcnt 0x0
	v_fmac_f64_e32 v[0:1], v[14:15], v[8:9]
	ds_store_b64 v5, v[0:1] offset:2560
.LBB0_21:
	s_or_b32 exec_lo, exec_lo, s2
	s_wait_dscnt 0x0
	s_barrier_signal -1
	s_barrier_wait -1
	s_and_saveexec_b32 s0, vcc_lo
	s_cbranch_execz .LBB0_24
; %bb.22:
	v_max_u32_e32 v0, v3, v4
	s_delay_alu instid0(VALU_DEP_1)
	v_cmp_gt_u32_e32 vcc_lo, 3, v0
	s_and_b32 exec_lo, exec_lo, vcc_lo
	s_cbranch_execz .LBB0_24
; %bb.23:
	s_wait_kmcnt 0x0
	s_clause 0x3
	global_load_b64 v[8:9], v4, s[6:7] scale_offset
	global_load_b64 v[10:11], v4, s[6:7] offset:24 scale_offset
	global_load_b64 v[12:13], v4, s[6:7] offset:48 scale_offset
	;; [unrolled: 1-line block ×3, first 2 shown]
	s_mul_u64 s[0:1], s[16:17], 0xd8
	v_mul_u32_u24_e32 v6, 24, v3
	s_add_nc_u64 s[0:1], s[14:15], s[0:1]
	v_mov_b32_e32 v7, 0
	v_mad_co_u64_u32 v[0:1], null, 0x48, v2, s[0:1]
	s_delay_alu instid0(VALU_DEP_1) | instskip(SKIP_1) | instid1(VALU_DEP_1)
	v_add_nc_u64_e32 v[0:1], v[0:1], v[6:7]
	v_lshlrev_b32_e32 v6, 3, v4
	v_add_nc_u64_e32 v[16:17], v[0:1], v[6:7]
	v_lshlrev_b32_e32 v0, 5, v3
	s_wait_xcnt 0x0
	s_delay_alu instid0(VALU_DEP_1)
	v_mad_u32_u24 v4, 0x60, v2, v0
	global_load_b64 v[18:19], v[16:17], off
	ds_load_b128 v[0:3], v4 offset:2560
	ds_load_b128 v[4:7], v4 offset:2576
	s_wait_loadcnt_dscnt 0x401
	v_fma_f64 v[0:1], v[8:9], v[0:1], 0
	s_wait_loadcnt 0x3
	s_delay_alu instid0(VALU_DEP_1) | instskip(SKIP_1) | instid1(VALU_DEP_1)
	v_fmac_f64_e32 v[0:1], v[10:11], v[2:3]
	s_wait_loadcnt_dscnt 0x200
	v_fmac_f64_e32 v[0:1], v[12:13], v[4:5]
	s_wait_loadcnt 0x1
	s_delay_alu instid0(VALU_DEP_1) | instskip(SKIP_1) | instid1(VALU_DEP_1)
	v_fmac_f64_e32 v[0:1], v[14:15], v[6:7]
	s_wait_loadcnt 0x0
	v_add_f64_e32 v[0:1], v[0:1], v[18:19]
	global_store_b64 v[16:17], v[0:1], off
.LBB0_24:
	s_endpgm
	.section	.rodata,"a",@progbits
	.p2align	6, 0x0
	.amdhsa_kernel _ZN8rajaperf4apps14Convection3DPAILm64EEEvPdS2_S2_S2_S2_S2_
		.amdhsa_group_segment_fixed_size 3072
		.amdhsa_private_segment_fixed_size 0
		.amdhsa_kernarg_size 48
		.amdhsa_user_sgpr_count 2
		.amdhsa_user_sgpr_dispatch_ptr 0
		.amdhsa_user_sgpr_queue_ptr 0
		.amdhsa_user_sgpr_kernarg_segment_ptr 1
		.amdhsa_user_sgpr_dispatch_id 0
		.amdhsa_user_sgpr_kernarg_preload_length 0
		.amdhsa_user_sgpr_kernarg_preload_offset 0
		.amdhsa_user_sgpr_private_segment_size 0
		.amdhsa_wavefront_size32 1
		.amdhsa_uses_dynamic_stack 0
		.amdhsa_enable_private_segment 0
		.amdhsa_system_sgpr_workgroup_id_x 1
		.amdhsa_system_sgpr_workgroup_id_y 0
		.amdhsa_system_sgpr_workgroup_id_z 0
		.amdhsa_system_sgpr_workgroup_info 0
		.amdhsa_system_vgpr_workitem_id 2
		.amdhsa_next_free_vgpr 29
		.amdhsa_next_free_sgpr 20
		.amdhsa_named_barrier_count 0
		.amdhsa_reserve_vcc 1
		.amdhsa_float_round_mode_32 0
		.amdhsa_float_round_mode_16_64 0
		.amdhsa_float_denorm_mode_32 3
		.amdhsa_float_denorm_mode_16_64 3
		.amdhsa_fp16_overflow 0
		.amdhsa_memory_ordered 1
		.amdhsa_forward_progress 1
		.amdhsa_inst_pref_size 16
		.amdhsa_round_robin_scheduling 0
		.amdhsa_exception_fp_ieee_invalid_op 0
		.amdhsa_exception_fp_denorm_src 0
		.amdhsa_exception_fp_ieee_div_zero 0
		.amdhsa_exception_fp_ieee_overflow 0
		.amdhsa_exception_fp_ieee_underflow 0
		.amdhsa_exception_fp_ieee_inexact 0
		.amdhsa_exception_int_div_zero 0
	.end_amdhsa_kernel
	.section	.text._ZN8rajaperf4apps14Convection3DPAILm64EEEvPdS2_S2_S2_S2_S2_,"axG",@progbits,_ZN8rajaperf4apps14Convection3DPAILm64EEEvPdS2_S2_S2_S2_S2_,comdat
.Lfunc_end0:
	.size	_ZN8rajaperf4apps14Convection3DPAILm64EEEvPdS2_S2_S2_S2_S2_, .Lfunc_end0-_ZN8rajaperf4apps14Convection3DPAILm64EEEvPdS2_S2_S2_S2_S2_
                                        ; -- End function
	.set _ZN8rajaperf4apps14Convection3DPAILm64EEEvPdS2_S2_S2_S2_S2_.num_vgpr, 29
	.set _ZN8rajaperf4apps14Convection3DPAILm64EEEvPdS2_S2_S2_S2_S2_.num_agpr, 0
	.set _ZN8rajaperf4apps14Convection3DPAILm64EEEvPdS2_S2_S2_S2_S2_.numbered_sgpr, 20
	.set _ZN8rajaperf4apps14Convection3DPAILm64EEEvPdS2_S2_S2_S2_S2_.num_named_barrier, 0
	.set _ZN8rajaperf4apps14Convection3DPAILm64EEEvPdS2_S2_S2_S2_S2_.private_seg_size, 0
	.set _ZN8rajaperf4apps14Convection3DPAILm64EEEvPdS2_S2_S2_S2_S2_.uses_vcc, 1
	.set _ZN8rajaperf4apps14Convection3DPAILm64EEEvPdS2_S2_S2_S2_S2_.uses_flat_scratch, 0
	.set _ZN8rajaperf4apps14Convection3DPAILm64EEEvPdS2_S2_S2_S2_S2_.has_dyn_sized_stack, 0
	.set _ZN8rajaperf4apps14Convection3DPAILm64EEEvPdS2_S2_S2_S2_S2_.has_recursion, 0
	.set _ZN8rajaperf4apps14Convection3DPAILm64EEEvPdS2_S2_S2_S2_S2_.has_indirect_call, 0
	.section	.AMDGPU.csdata,"",@progbits
; Kernel info:
; codeLenInByte = 2044
; TotalNumSgprs: 22
; NumVgprs: 29
; ScratchSize: 0
; MemoryBound: 0
; FloatMode: 240
; IeeeMode: 1
; LDSByteSize: 3072 bytes/workgroup (compile time only)
; SGPRBlocks: 0
; VGPRBlocks: 1
; NumSGPRsForWavesPerEU: 22
; NumVGPRsForWavesPerEU: 29
; NamedBarCnt: 0
; Occupancy: 16
; WaveLimiterHint : 1
; COMPUTE_PGM_RSRC2:SCRATCH_EN: 0
; COMPUTE_PGM_RSRC2:USER_SGPR: 2
; COMPUTE_PGM_RSRC2:TRAP_HANDLER: 0
; COMPUTE_PGM_RSRC2:TGID_X_EN: 1
; COMPUTE_PGM_RSRC2:TGID_Y_EN: 0
; COMPUTE_PGM_RSRC2:TGID_Z_EN: 0
; COMPUTE_PGM_RSRC2:TIDIG_COMP_CNT: 2
	.section	.text._ZN4RAJA34launch_new_reduce_global_fcn_fixedIZN8rajaperf4apps14CONVECTION3DPA17runHipVariantImplILm64EEEvNS1_9VariantIDEEUlNS_14LaunchContextTINS_3hip33LaunchContextIndicesAndDimsPolicyINS7_14IndicesAndDimsILb0ELb0ELb0ELb0EEEEEEEE_Li64ENS_4expt15ForallParamPackIJEEEEEvT_T1_,"axG",@progbits,_ZN4RAJA34launch_new_reduce_global_fcn_fixedIZN8rajaperf4apps14CONVECTION3DPA17runHipVariantImplILm64EEEvNS1_9VariantIDEEUlNS_14LaunchContextTINS_3hip33LaunchContextIndicesAndDimsPolicyINS7_14IndicesAndDimsILb0ELb0ELb0ELb0EEEEEEEE_Li64ENS_4expt15ForallParamPackIJEEEEEvT_T1_,comdat
	.protected	_ZN4RAJA34launch_new_reduce_global_fcn_fixedIZN8rajaperf4apps14CONVECTION3DPA17runHipVariantImplILm64EEEvNS1_9VariantIDEEUlNS_14LaunchContextTINS_3hip33LaunchContextIndicesAndDimsPolicyINS7_14IndicesAndDimsILb0ELb0ELb0ELb0EEEEEEEE_Li64ENS_4expt15ForallParamPackIJEEEEEvT_T1_ ; -- Begin function _ZN4RAJA34launch_new_reduce_global_fcn_fixedIZN8rajaperf4apps14CONVECTION3DPA17runHipVariantImplILm64EEEvNS1_9VariantIDEEUlNS_14LaunchContextTINS_3hip33LaunchContextIndicesAndDimsPolicyINS7_14IndicesAndDimsILb0ELb0ELb0ELb0EEEEEEEE_Li64ENS_4expt15ForallParamPackIJEEEEEvT_T1_
	.globl	_ZN4RAJA34launch_new_reduce_global_fcn_fixedIZN8rajaperf4apps14CONVECTION3DPA17runHipVariantImplILm64EEEvNS1_9VariantIDEEUlNS_14LaunchContextTINS_3hip33LaunchContextIndicesAndDimsPolicyINS7_14IndicesAndDimsILb0ELb0ELb0ELb0EEEEEEEE_Li64ENS_4expt15ForallParamPackIJEEEEEvT_T1_
	.p2align	8
	.type	_ZN4RAJA34launch_new_reduce_global_fcn_fixedIZN8rajaperf4apps14CONVECTION3DPA17runHipVariantImplILm64EEEvNS1_9VariantIDEEUlNS_14LaunchContextTINS_3hip33LaunchContextIndicesAndDimsPolicyINS7_14IndicesAndDimsILb0ELb0ELb0ELb0EEEEEEEE_Li64ENS_4expt15ForallParamPackIJEEEEEvT_T1_,@function
_ZN4RAJA34launch_new_reduce_global_fcn_fixedIZN8rajaperf4apps14CONVECTION3DPA17runHipVariantImplILm64EEEvNS1_9VariantIDEEUlNS_14LaunchContextTINS_3hip33LaunchContextIndicesAndDimsPolicyINS7_14IndicesAndDimsILb0ELb0ELb0ELb0EEEEEEEE_Li64ENS_4expt15ForallParamPackIJEEEEEvT_T1_: ; @_ZN4RAJA34launch_new_reduce_global_fcn_fixedIZN8rajaperf4apps14CONVECTION3DPA17runHipVariantImplILm64EEEvNS1_9VariantIDEEUlNS_14LaunchContextTINS_3hip33LaunchContextIndicesAndDimsPolicyINS7_14IndicesAndDimsILb0ELb0ELb0ELb0EEEEEEEE_Li64ENS_4expt15ForallParamPackIJEEEEEvT_T1_
; %bb.0:
	s_load_b256 s[4:11], s[0:1], 0x0
	s_bfe_u32 s2, ttmp6, 0x4000c
	s_and_b32 s3, ttmp6, 15
	s_add_co_i32 s2, s2, 1
	s_getreg_b32 s12, hwreg(HW_REG_IB_STS2, 6, 4)
	s_mul_i32 s2, ttmp9, s2
	s_delay_alu instid0(SALU_CYCLE_1)
	s_add_co_i32 s2, s3, s2
	s_cmp_eq_u32 s12, 0
	s_mov_b32 s3, 0
	s_cselect_b32 s2, ttmp9, s2
	s_wait_kmcnt 0x0
	v_cmp_le_i64_e64 s3, s[4:5], s[2:3]
	s_and_b32 vcc_lo, exec_lo, s3
	s_cbranch_vccnz .LBB1_36
; %bb.1:
	s_clause 0x1
	s_load_b128 s[12:15], s[0:1], 0x20
	s_load_b64 s[4:5], s[0:1], 0x30
	v_bfe_u32 v1, v0, 20, 10
	v_bfe_u32 v4, v0, 10, 10
	s_wait_xcnt 0x0
	s_delay_alu instid0(VALU_DEP_2)
	v_cmp_lt_u32_e64 s0, 2, v1
	v_cmp_gt_u32_e32 vcc_lo, 3, v1
	s_and_saveexec_b32 s3, vcc_lo
	s_cbranch_execz .LBB1_5
; %bb.2:
	v_cmp_gt_u32_e64 s1, 3, v4
	s_and_b32 exec_lo, exec_lo, s1
	s_cbranch_execz .LBB1_5
; %bb.3:
	v_and_b32_e32 v2, 0x3ff, v0
	s_delay_alu instid0(VALU_DEP_1)
	v_cmp_gt_u32_e64 s1, 3, v2
	s_and_b32 exec_lo, exec_lo, s1
	s_cbranch_execz .LBB1_5
; %bb.4:
	v_dual_mov_b32 v7, 0 :: v_dual_lshlrev_b32 v2, 3, v2
	v_mul_u32_u24_e32 v6, 24, v4
	s_delay_alu instid0(VALU_DEP_2) | instskip(NEXT) | instid1(VALU_DEP_2)
	v_mov_b32_e32 v3, v7
	v_add_nc_u64_e32 v[8:9], s[6:7], v[6:7]
	s_delay_alu instid0(VALU_DEP_1) | instskip(NEXT) | instid1(VALU_DEP_1)
	v_mad_co_u64_u32 v[8:9], null, 0x48, v1, v[8:9]
	v_mad_nc_u64_u32 v[8:9], 0xd8, s2, v[8:9]
	s_delay_alu instid0(VALU_DEP_1) | instskip(SKIP_1) | instid1(VALU_DEP_1)
	v_add_nc_u64_e32 v[8:9], v[8:9], v[2:3]
	v_mul_u32_u24_e32 v3, 0x48, v1
	v_add3_u32 v2, v3, v6, v2
	global_load_b64 v[8:9], v[8:9], off
	s_wait_loadcnt 0x0
	ds_store_b64 v2, v[8:9]
.LBB1_5:
	s_or_b32 exec_lo, exec_lo, s3
	v_and_b32_e32 v2, 0x3ff, v0
	s_wait_dscnt 0x0
	s_barrier_signal -1
	s_barrier_wait -1
	s_and_saveexec_b32 s1, s0
	s_delay_alu instid0(SALU_CYCLE_1)
	s_xor_b32 s0, exec_lo, s1
; %bb.6:
	v_and_b32_e32 v2, 0x3ff, v0
	v_mov_b32_e32 v3, 0
; %bb.7:
	s_and_not1_saveexec_b32 s1, s0
	s_cbranch_execz .LBB1_12
; %bb.8:
	v_mov_b32_e32 v3, 0
	s_mov_b32 s3, exec_lo
	v_cmpx_gt_u32_e32 3, v4
	s_cbranch_execz .LBB1_11
; %bb.9:
	v_cmp_gt_u32_e64 s0, 4, v2
	s_and_b32 exec_lo, exec_lo, s0
	s_cbranch_execz .LBB1_11
; %bb.10:
	s_clause 0x5
	global_load_b64 v[10:11], v2, s[8:9] scale_offset
	global_load_b64 v[12:13], v2, s[10:11] scale_offset
	global_load_b64 v[14:15], v2, s[8:9] offset:32 scale_offset
	global_load_b64 v[16:17], v2, s[10:11] offset:32 scale_offset
	;; [unrolled: 1-line block ×4, first 2 shown]
	v_mul_u32_u24_e32 v0, 24, v4
	v_lshlrev_b32_e32 v5, 5, v4
	s_delay_alu instid0(VALU_DEP_2)
	v_mad_u32_u24 v0, 0x48, v1, v0
	ds_load_2addr_b64 v[6:9], v0 offset1:1
	ds_load_b64 v[22:23], v0 offset:16
	v_mul_u32_u24_e32 v0, 0x60, v1
	s_wait_loadcnt_dscnt 0x501
	v_fma_f64 v[10:11], v[10:11], v[6:7], 0
	s_wait_loadcnt 0x4
	v_fma_f64 v[6:7], v[12:13], v[6:7], 0
	s_wait_loadcnt 0x3
	s_delay_alu instid0(VALU_DEP_2) | instskip(SKIP_1) | instid1(VALU_DEP_2)
	v_fmac_f64_e32 v[10:11], v[14:15], v[8:9]
	s_wait_loadcnt 0x2
	v_fmac_f64_e32 v[6:7], v[16:17], v[8:9]
	v_lshlrev_b32_e32 v8, 3, v2
	s_delay_alu instid0(VALU_DEP_1) | instskip(SKIP_1) | instid1(VALU_DEP_4)
	v_add3_u32 v0, v0, v5, v8
	s_wait_loadcnt_dscnt 0x100
	v_fmac_f64_e32 v[10:11], v[18:19], v[22:23]
	s_wait_loadcnt 0x0
	s_delay_alu instid0(VALU_DEP_4)
	v_fmac_f64_e32 v[6:7], v[20:21], v[22:23]
	ds_store_2addr_stride64_b64 v0, v[10:11], v[6:7] offset0:1 offset1:2
.LBB1_11:
	s_or_b32 exec_lo, exec_lo, s3
.LBB1_12:
	s_delay_alu instid0(SALU_CYCLE_1)
	s_or_b32 exec_lo, exec_lo, s1
	s_wait_dscnt 0x0
	s_barrier_signal -1
	s_barrier_wait -1
	s_and_saveexec_b32 s1, vcc_lo
	s_cbranch_execz .LBB1_16
; %bb.13:
	v_cmp_gt_u32_e64 s0, 4, v2
	s_and_b32 exec_lo, exec_lo, s0
	s_cbranch_execz .LBB1_16
; %bb.14:
	v_cmp_gt_u32_e64 s0, 4, v4
	s_and_b32 exec_lo, exec_lo, s0
	s_cbranch_execz .LBB1_16
; %bb.15:
	s_clause 0x5
	global_load_b64 v[14:15], v4, s[8:9] scale_offset
	global_load_b64 v[16:17], v4, s[10:11] scale_offset
	global_load_b64 v[18:19], v4, s[8:9] offset:32 scale_offset
	global_load_b64 v[20:21], v4, s[10:11] offset:32 scale_offset
	;; [unrolled: 1-line block ×4, first 2 shown]
	v_lshlrev_b32_e32 v0, 3, v2
	s_delay_alu instid0(VALU_DEP_1)
	v_mad_u32_u24 v5, 0x60, v1, v0
	ds_load_2addr_b64 v[6:9], v5 offset0:64 offset1:68
	ds_load_2addr_b64 v[10:13], v5 offset0:72 offset1:128
	s_wait_loadcnt_dscnt 0x501
	v_fma_f64 v[26:27], v[14:15], v[6:7], 0
	s_wait_loadcnt 0x4
	v_fma_f64 v[6:7], v[16:17], v[6:7], 0
	s_wait_dscnt 0x0
	v_fma_f64 v[16:17], v[14:15], v[12:13], 0
	ds_load_2addr_b64 v[12:15], v5 offset0:132 offset1:136
	v_lshlrev_b32_e32 v5, 7, v1
	s_wait_loadcnt 0x3
	v_fmac_f64_e32 v[26:27], v[18:19], v[8:9]
	s_wait_loadcnt 0x2
	v_fmac_f64_e32 v[6:7], v[20:21], v[8:9]
	s_wait_dscnt 0x0
	v_fmac_f64_e32 v[16:17], v[18:19], v[12:13]
	v_lshlrev_b32_e32 v8, 5, v4
	s_delay_alu instid0(VALU_DEP_1)
	v_add3_u32 v0, v5, v0, v8
	s_wait_loadcnt 0x1
	v_fmac_f64_e32 v[26:27], v[22:23], v[10:11]
	s_wait_loadcnt 0x0
	v_fmac_f64_e32 v[6:7], v[24:25], v[10:11]
	v_fmac_f64_e32 v[16:17], v[22:23], v[14:15]
	ds_store_2addr_stride64_b64 v0, v[26:27], v[6:7] offset0:3 offset1:4
	ds_store_b64 v0, v[16:17] offset:2560
.LBB1_16:
	s_or_b32 exec_lo, exec_lo, s1
	v_cmp_gt_u32_e64 s0, 4, v2
	s_wait_dscnt 0x0
	s_barrier_signal -1
	s_barrier_wait -1
	s_and_saveexec_b32 s3, s0
	s_cbranch_execz .LBB1_20
; %bb.17:
	v_cmp_gt_u32_e64 s1, 4, v4
	s_and_b32 exec_lo, exec_lo, s1
	s_cbranch_execz .LBB1_20
; %bb.18:
	v_cmp_gt_u32_e64 s1, 4, v1
	s_and_b32 exec_lo, exec_lo, s1
	s_cbranch_execz .LBB1_20
; %bb.19:
	s_clause 0x5
	global_load_b64 v[18:19], v1, s[10:11] scale_offset
	global_load_b64 v[20:21], v1, s[8:9] scale_offset
	global_load_b64 v[22:23], v1, s[10:11] offset:32 scale_offset
	global_load_b64 v[24:25], v1, s[8:9] offset:32 scale_offset
	;; [unrolled: 1-line block ×4, first 2 shown]
	v_lshlrev_b32_e32 v0, 3, v2
	s_delay_alu instid0(VALU_DEP_1) | instskip(NEXT) | instid1(VALU_DEP_1)
	v_lshl_add_u32 v0, v4, 5, v0
	v_add_nc_u32_e32 v5, 0x400, v0
	v_add_nc_u32_e32 v30, 0x800, v0
	ds_load_2addr_b64 v[6:9], v0 offset0:192 offset1:208
	ds_load_2addr_b64 v[10:13], v5 offset0:96 offset1:128
	;; [unrolled: 1-line block ×3, first 2 shown]
	s_wait_loadcnt_dscnt 0x502
	v_fma_f64 v[6:7], v[18:19], v[6:7], 0
	s_wait_loadcnt_dscnt 0x401
	v_fma_f64 v[18:19], v[20:21], v[12:13], 0
	s_wait_dscnt 0x0
	v_fma_f64 v[20:21], v[20:21], v[14:15], 0
	ds_load_2addr_b64 v[12:15], v30 offset0:16 offset1:32
	s_wait_loadcnt 0x3
	v_fmac_f64_e32 v[6:7], v[22:23], v[8:9]
	s_wait_loadcnt_dscnt 0x200
	v_fmac_f64_e32 v[18:19], v[24:25], v[12:13]
	v_fmac_f64_e32 v[20:21], v[24:25], v[16:17]
	ds_load_b64 v[8:9], v0 offset:2816
	v_lshl_add_u32 v0, v1, 7, v0
	s_wait_loadcnt 0x1
	v_fmac_f64_e32 v[6:7], v[26:27], v[10:11]
	s_wait_loadcnt 0x0
	v_fmac_f64_e32 v[18:19], v[28:29], v[14:15]
	s_wait_dscnt 0x0
	v_fmac_f64_e32 v[20:21], v[28:29], v[8:9]
	ds_store_2addr_stride64_b64 v0, v[6:7], v[18:19] offset1:1
	ds_store_b64 v0, v[20:21] offset:1024
.LBB1_20:
	s_or_b32 exec_lo, exec_lo, s3
	s_delay_alu instid0(SALU_CYCLE_1)
	s_mov_b32 s3, exec_lo
	s_wait_dscnt 0x0
	s_barrier_signal -1
	s_barrier_wait -1
	v_cmpx_gt_u32_e32 4, v1
	s_cbranch_execz .LBB1_24
; %bb.21:
	v_cmp_gt_u32_e64 s1, 4, v4
	s_and_b32 exec_lo, exec_lo, s1
	s_cbranch_execz .LBB1_24
; %bb.22:
	s_and_b32 exec_lo, exec_lo, s0
	s_cbranch_execz .LBB1_24
; %bb.23:
	v_dual_mov_b32 v7, 0 :: v_dual_lshlrev_b32 v6, 5, v4
	s_delay_alu instid0(VALU_DEP_1) | instskip(SKIP_1) | instid1(VALU_DEP_2)
	v_dual_mov_b32 v11, v7 :: v_dual_lshlrev_b32 v10, 7, v1
	s_wait_kmcnt 0x0
	v_add_nc_u64_e32 v[8:9], s[12:13], v[6:7]
	s_delay_alu instid0(VALU_DEP_1) | instskip(NEXT) | instid1(VALU_DEP_1)
	v_add_nc_u64_e32 v[8:9], v[8:9], v[10:11]
	v_lshl_add_u64 v[8:9], v[2:3], 3, v[8:9]
	s_delay_alu instid0(VALU_DEP_1)
	v_mad_nc_u64_u32 v[8:9], 0x600, s2, v[8:9]
	s_clause 0x2
	global_load_b64 v[12:13], v[8:9], off offset:512
	global_load_b64 v[14:15], v[8:9], off
	global_load_b64 v[16:17], v[8:9], off offset:1024
	v_lshlrev_b32_e32 v0, 3, v2
	s_delay_alu instid0(VALU_DEP_1)
	v_add3_u32 v0, v10, v6, v0
	s_wait_xcnt 0x0
	ds_load_2addr_stride64_b64 v[6:9], v0 offset1:1
	ds_load_b64 v[10:11], v0 offset:1024
	s_wait_loadcnt_dscnt 0x201
	v_mul_f64_e32 v[8:9], v[12:13], v[8:9]
	s_wait_loadcnt_dscnt 0x100
	s_delay_alu instid0(VALU_DEP_1) | instskip(SKIP_1) | instid1(VALU_DEP_1)
	v_fmac_f64_e32 v[8:9], v[14:15], v[10:11]
	s_wait_loadcnt 0x0
	v_fmac_f64_e32 v[8:9], v[16:17], v[6:7]
	ds_store_b64 v0, v[8:9] offset:1536
.LBB1_24:
	s_or_b32 exec_lo, exec_lo, s3
	s_wait_dscnt 0x0
	s_barrier_signal -1
	s_barrier_wait -1
	s_and_saveexec_b32 s3, s0
	s_cbranch_execz .LBB1_28
; %bb.25:
	v_cmp_gt_u32_e64 s1, 4, v4
	s_and_b32 exec_lo, exec_lo, s1
	s_cbranch_execz .LBB1_28
; %bb.26:
	s_and_b32 exec_lo, exec_lo, vcc_lo
	s_cbranch_execz .LBB1_28
; %bb.27:
	s_wait_kmcnt 0x0
	s_clause 0x3
	global_load_b64 v[10:11], v1, s[14:15] scale_offset
	global_load_b64 v[12:13], v1, s[14:15] offset:24 scale_offset
	global_load_b64 v[14:15], v1, s[14:15] offset:48 scale_offset
	;; [unrolled: 1-line block ×3, first 2 shown]
	v_lshlrev_b32_e32 v0, 3, v2
	s_delay_alu instid0(VALU_DEP_1) | instskip(SKIP_4) | instid1(VALU_DEP_1)
	v_lshl_add_u32 v0, v4, 5, v0
	ds_load_2addr_b64 v[6:9], v0 offset0:192 offset1:208
	s_wait_loadcnt_dscnt 0x300
	v_fma_f64 v[10:11], v[10:11], v[6:7], 0
	s_wait_loadcnt 0x2
	v_fmac_f64_e32 v[10:11], v[12:13], v[8:9]
	ds_load_2addr_b64 v[6:9], v0 offset0:224 offset1:240
	v_lshl_add_u32 v0, v1, 7, v0
	s_wait_loadcnt_dscnt 0x100
	v_fmac_f64_e32 v[10:11], v[14:15], v[6:7]
	s_wait_loadcnt 0x0
	s_delay_alu instid0(VALU_DEP_1)
	v_fmac_f64_e32 v[10:11], v[16:17], v[8:9]
	ds_store_b64 v0, v[10:11] offset:2048
.LBB1_28:
	s_or_b32 exec_lo, exec_lo, s3
	s_wait_dscnt 0x0
	s_barrier_signal -1
	s_barrier_wait -1
	s_and_saveexec_b32 s1, vcc_lo
	s_cbranch_execz .LBB1_32
; %bb.29:
	s_and_b32 exec_lo, exec_lo, s0
	s_cbranch_execz .LBB1_32
; %bb.30:
	v_cmp_gt_u32_e64 s0, 3, v4
	s_and_b32 exec_lo, exec_lo, s0
	s_cbranch_execz .LBB1_32
; %bb.31:
	s_wait_kmcnt 0x0
	s_clause 0x3
	global_load_b64 v[10:11], v4, s[14:15] scale_offset
	global_load_b64 v[12:13], v4, s[14:15] offset:24 scale_offset
	global_load_b64 v[14:15], v4, s[14:15] offset:48 scale_offset
	;; [unrolled: 1-line block ×3, first 2 shown]
	v_lshlrev_b32_e32 v0, 3, v2
	s_delay_alu instid0(VALU_DEP_1) | instskip(NEXT) | instid1(VALU_DEP_1)
	v_lshl_add_u32 v5, v1, 7, v0
	v_add_nc_u32_e32 v5, 0x800, v5
	ds_load_2addr_b64 v[6:9], v5 offset1:4
	s_wait_loadcnt_dscnt 0x300
	v_fma_f64 v[10:11], v[10:11], v[6:7], 0
	s_wait_loadcnt 0x2
	s_delay_alu instid0(VALU_DEP_1)
	v_fmac_f64_e32 v[10:11], v[12:13], v[8:9]
	ds_load_2addr_b64 v[6:9], v5 offset0:8 offset1:12
	v_mul_u32_u24_e32 v5, 0x60, v1
	s_wait_loadcnt_dscnt 0x100
	v_fmac_f64_e32 v[10:11], v[14:15], v[6:7]
	v_lshlrev_b32_e32 v6, 5, v4
	s_delay_alu instid0(VALU_DEP_1) | instskip(SKIP_1) | instid1(VALU_DEP_3)
	v_add3_u32 v0, v5, v0, v6
	s_wait_loadcnt 0x0
	v_fmac_f64_e32 v[10:11], v[16:17], v[8:9]
	ds_store_b64 v0, v[10:11] offset:2560
.LBB1_32:
	s_or_b32 exec_lo, exec_lo, s1
	s_wait_dscnt 0x0
	s_barrier_signal -1
	s_barrier_wait -1
	s_and_saveexec_b32 s0, vcc_lo
	s_cbranch_execz .LBB1_36
; %bb.33:
	v_cmp_gt_u32_e32 vcc_lo, 3, v4
	s_and_b32 exec_lo, exec_lo, vcc_lo
	s_cbranch_execz .LBB1_36
; %bb.34:
	v_cmp_gt_u32_e32 vcc_lo, 3, v2
	s_and_b32 exec_lo, exec_lo, vcc_lo
	s_cbranch_execz .LBB1_36
; %bb.35:
	v_lshlrev_b64_e32 v[2:3], 3, v[2:3]
	v_mul_u32_u24_e32 v14, 24, v4
	v_dual_mov_b32 v15, 0 :: v_dual_lshlrev_b32 v0, 5, v4
	s_wait_kmcnt 0x0
	s_delay_alu instid0(VALU_DEP_1) | instskip(NEXT) | instid1(VALU_DEP_4)
	v_add_nc_u64_e32 v[14:15], s[4:5], v[14:15]
	v_add_nc_u64_e32 v[6:7], s[14:15], v[2:3]
	s_delay_alu instid0(VALU_DEP_3)
	v_mad_u32_u24 v4, 0x60, v1, v0
	s_clause 0x3
	global_load_b64 v[8:9], v[6:7], off
	global_load_b64 v[10:11], v[6:7], off offset:24
	global_load_b64 v[12:13], v[6:7], off offset:48
	;; [unrolled: 1-line block ×3, first 2 shown]
	s_wait_xcnt 0x0
	v_mad_co_u64_u32 v[6:7], null, 0x48, v1, v[14:15]
	s_delay_alu instid0(VALU_DEP_1) | instskip(NEXT) | instid1(VALU_DEP_1)
	v_mad_nc_u64_u32 v[6:7], 0xd8, s2, v[6:7]
	v_add_nc_u64_e32 v[14:15], v[6:7], v[2:3]
	global_load_b64 v[18:19], v[14:15], off
	ds_load_b128 v[0:3], v4 offset:2560
	ds_load_b128 v[4:7], v4 offset:2576
	s_wait_loadcnt_dscnt 0x401
	v_fma_f64 v[0:1], v[8:9], v[0:1], 0
	s_wait_loadcnt 0x3
	s_delay_alu instid0(VALU_DEP_1) | instskip(SKIP_1) | instid1(VALU_DEP_1)
	v_fmac_f64_e32 v[0:1], v[10:11], v[2:3]
	s_wait_loadcnt_dscnt 0x200
	v_fmac_f64_e32 v[0:1], v[12:13], v[4:5]
	s_wait_loadcnt 0x1
	s_delay_alu instid0(VALU_DEP_1) | instskip(SKIP_1) | instid1(VALU_DEP_1)
	v_fmac_f64_e32 v[0:1], v[16:17], v[6:7]
	s_wait_loadcnt 0x0
	v_add_f64_e32 v[0:1], v[18:19], v[0:1]
	global_store_b64 v[14:15], v[0:1], off
.LBB1_36:
	s_endpgm
	.section	.rodata,"a",@progbits
	.p2align	6, 0x0
	.amdhsa_kernel _ZN4RAJA34launch_new_reduce_global_fcn_fixedIZN8rajaperf4apps14CONVECTION3DPA17runHipVariantImplILm64EEEvNS1_9VariantIDEEUlNS_14LaunchContextTINS_3hip33LaunchContextIndicesAndDimsPolicyINS7_14IndicesAndDimsILb0ELb0ELb0ELb0EEEEEEEE_Li64ENS_4expt15ForallParamPackIJEEEEEvT_T1_
		.amdhsa_group_segment_fixed_size 3072
		.amdhsa_private_segment_fixed_size 0
		.amdhsa_kernarg_size 60
		.amdhsa_user_sgpr_count 2
		.amdhsa_user_sgpr_dispatch_ptr 0
		.amdhsa_user_sgpr_queue_ptr 0
		.amdhsa_user_sgpr_kernarg_segment_ptr 1
		.amdhsa_user_sgpr_dispatch_id 0
		.amdhsa_user_sgpr_kernarg_preload_length 0
		.amdhsa_user_sgpr_kernarg_preload_offset 0
		.amdhsa_user_sgpr_private_segment_size 0
		.amdhsa_wavefront_size32 1
		.amdhsa_uses_dynamic_stack 0
		.amdhsa_enable_private_segment 0
		.amdhsa_system_sgpr_workgroup_id_x 1
		.amdhsa_system_sgpr_workgroup_id_y 0
		.amdhsa_system_sgpr_workgroup_id_z 0
		.amdhsa_system_sgpr_workgroup_info 0
		.amdhsa_system_vgpr_workitem_id 2
		.amdhsa_next_free_vgpr 31
		.amdhsa_next_free_sgpr 16
		.amdhsa_named_barrier_count 0
		.amdhsa_reserve_vcc 1
		.amdhsa_float_round_mode_32 0
		.amdhsa_float_round_mode_16_64 0
		.amdhsa_float_denorm_mode_32 3
		.amdhsa_float_denorm_mode_16_64 3
		.amdhsa_fp16_overflow 0
		.amdhsa_memory_ordered 1
		.amdhsa_forward_progress 1
		.amdhsa_inst_pref_size 17
		.amdhsa_round_robin_scheduling 0
		.amdhsa_exception_fp_ieee_invalid_op 0
		.amdhsa_exception_fp_denorm_src 0
		.amdhsa_exception_fp_ieee_div_zero 0
		.amdhsa_exception_fp_ieee_overflow 0
		.amdhsa_exception_fp_ieee_underflow 0
		.amdhsa_exception_fp_ieee_inexact 0
		.amdhsa_exception_int_div_zero 0
	.end_amdhsa_kernel
	.section	.text._ZN4RAJA34launch_new_reduce_global_fcn_fixedIZN8rajaperf4apps14CONVECTION3DPA17runHipVariantImplILm64EEEvNS1_9VariantIDEEUlNS_14LaunchContextTINS_3hip33LaunchContextIndicesAndDimsPolicyINS7_14IndicesAndDimsILb0ELb0ELb0ELb0EEEEEEEE_Li64ENS_4expt15ForallParamPackIJEEEEEvT_T1_,"axG",@progbits,_ZN4RAJA34launch_new_reduce_global_fcn_fixedIZN8rajaperf4apps14CONVECTION3DPA17runHipVariantImplILm64EEEvNS1_9VariantIDEEUlNS_14LaunchContextTINS_3hip33LaunchContextIndicesAndDimsPolicyINS7_14IndicesAndDimsILb0ELb0ELb0ELb0EEEEEEEE_Li64ENS_4expt15ForallParamPackIJEEEEEvT_T1_,comdat
.Lfunc_end1:
	.size	_ZN4RAJA34launch_new_reduce_global_fcn_fixedIZN8rajaperf4apps14CONVECTION3DPA17runHipVariantImplILm64EEEvNS1_9VariantIDEEUlNS_14LaunchContextTINS_3hip33LaunchContextIndicesAndDimsPolicyINS7_14IndicesAndDimsILb0ELb0ELb0ELb0EEEEEEEE_Li64ENS_4expt15ForallParamPackIJEEEEEvT_T1_, .Lfunc_end1-_ZN4RAJA34launch_new_reduce_global_fcn_fixedIZN8rajaperf4apps14CONVECTION3DPA17runHipVariantImplILm64EEEvNS1_9VariantIDEEUlNS_14LaunchContextTINS_3hip33LaunchContextIndicesAndDimsPolicyINS7_14IndicesAndDimsILb0ELb0ELb0ELb0EEEEEEEE_Li64ENS_4expt15ForallParamPackIJEEEEEvT_T1_
                                        ; -- End function
	.set _ZN4RAJA34launch_new_reduce_global_fcn_fixedIZN8rajaperf4apps14CONVECTION3DPA17runHipVariantImplILm64EEEvNS1_9VariantIDEEUlNS_14LaunchContextTINS_3hip33LaunchContextIndicesAndDimsPolicyINS7_14IndicesAndDimsILb0ELb0ELb0ELb0EEEEEEEE_Li64ENS_4expt15ForallParamPackIJEEEEEvT_T1_.num_vgpr, 31
	.set _ZN4RAJA34launch_new_reduce_global_fcn_fixedIZN8rajaperf4apps14CONVECTION3DPA17runHipVariantImplILm64EEEvNS1_9VariantIDEEUlNS_14LaunchContextTINS_3hip33LaunchContextIndicesAndDimsPolicyINS7_14IndicesAndDimsILb0ELb0ELb0ELb0EEEEEEEE_Li64ENS_4expt15ForallParamPackIJEEEEEvT_T1_.num_agpr, 0
	.set _ZN4RAJA34launch_new_reduce_global_fcn_fixedIZN8rajaperf4apps14CONVECTION3DPA17runHipVariantImplILm64EEEvNS1_9VariantIDEEUlNS_14LaunchContextTINS_3hip33LaunchContextIndicesAndDimsPolicyINS7_14IndicesAndDimsILb0ELb0ELb0ELb0EEEEEEEE_Li64ENS_4expt15ForallParamPackIJEEEEEvT_T1_.numbered_sgpr, 16
	.set _ZN4RAJA34launch_new_reduce_global_fcn_fixedIZN8rajaperf4apps14CONVECTION3DPA17runHipVariantImplILm64EEEvNS1_9VariantIDEEUlNS_14LaunchContextTINS_3hip33LaunchContextIndicesAndDimsPolicyINS7_14IndicesAndDimsILb0ELb0ELb0ELb0EEEEEEEE_Li64ENS_4expt15ForallParamPackIJEEEEEvT_T1_.num_named_barrier, 0
	.set _ZN4RAJA34launch_new_reduce_global_fcn_fixedIZN8rajaperf4apps14CONVECTION3DPA17runHipVariantImplILm64EEEvNS1_9VariantIDEEUlNS_14LaunchContextTINS_3hip33LaunchContextIndicesAndDimsPolicyINS7_14IndicesAndDimsILb0ELb0ELb0ELb0EEEEEEEE_Li64ENS_4expt15ForallParamPackIJEEEEEvT_T1_.private_seg_size, 0
	.set _ZN4RAJA34launch_new_reduce_global_fcn_fixedIZN8rajaperf4apps14CONVECTION3DPA17runHipVariantImplILm64EEEvNS1_9VariantIDEEUlNS_14LaunchContextTINS_3hip33LaunchContextIndicesAndDimsPolicyINS7_14IndicesAndDimsILb0ELb0ELb0ELb0EEEEEEEE_Li64ENS_4expt15ForallParamPackIJEEEEEvT_T1_.uses_vcc, 1
	.set _ZN4RAJA34launch_new_reduce_global_fcn_fixedIZN8rajaperf4apps14CONVECTION3DPA17runHipVariantImplILm64EEEvNS1_9VariantIDEEUlNS_14LaunchContextTINS_3hip33LaunchContextIndicesAndDimsPolicyINS7_14IndicesAndDimsILb0ELb0ELb0ELb0EEEEEEEE_Li64ENS_4expt15ForallParamPackIJEEEEEvT_T1_.uses_flat_scratch, 0
	.set _ZN4RAJA34launch_new_reduce_global_fcn_fixedIZN8rajaperf4apps14CONVECTION3DPA17runHipVariantImplILm64EEEvNS1_9VariantIDEEUlNS_14LaunchContextTINS_3hip33LaunchContextIndicesAndDimsPolicyINS7_14IndicesAndDimsILb0ELb0ELb0ELb0EEEEEEEE_Li64ENS_4expt15ForallParamPackIJEEEEEvT_T1_.has_dyn_sized_stack, 0
	.set _ZN4RAJA34launch_new_reduce_global_fcn_fixedIZN8rajaperf4apps14CONVECTION3DPA17runHipVariantImplILm64EEEvNS1_9VariantIDEEUlNS_14LaunchContextTINS_3hip33LaunchContextIndicesAndDimsPolicyINS7_14IndicesAndDimsILb0ELb0ELb0ELb0EEEEEEEE_Li64ENS_4expt15ForallParamPackIJEEEEEvT_T1_.has_recursion, 0
	.set _ZN4RAJA34launch_new_reduce_global_fcn_fixedIZN8rajaperf4apps14CONVECTION3DPA17runHipVariantImplILm64EEEvNS1_9VariantIDEEUlNS_14LaunchContextTINS_3hip33LaunchContextIndicesAndDimsPolicyINS7_14IndicesAndDimsILb0ELb0ELb0ELb0EEEEEEEE_Li64ENS_4expt15ForallParamPackIJEEEEEvT_T1_.has_indirect_call, 0
	.section	.AMDGPU.csdata,"",@progbits
; Kernel info:
; codeLenInByte = 2112
; TotalNumSgprs: 18
; NumVgprs: 31
; ScratchSize: 0
; MemoryBound: 0
; FloatMode: 240
; IeeeMode: 1
; LDSByteSize: 3072 bytes/workgroup (compile time only)
; SGPRBlocks: 0
; VGPRBlocks: 1
; NumSGPRsForWavesPerEU: 18
; NumVGPRsForWavesPerEU: 31
; NamedBarCnt: 0
; Occupancy: 16
; WaveLimiterHint : 1
; COMPUTE_PGM_RSRC2:SCRATCH_EN: 0
; COMPUTE_PGM_RSRC2:USER_SGPR: 2
; COMPUTE_PGM_RSRC2:TRAP_HANDLER: 0
; COMPUTE_PGM_RSRC2:TGID_X_EN: 1
; COMPUTE_PGM_RSRC2:TGID_Y_EN: 0
; COMPUTE_PGM_RSRC2:TGID_Z_EN: 0
; COMPUTE_PGM_RSRC2:TIDIG_COMP_CNT: 2
	.section	.AMDGPU.gpr_maximums,"",@progbits
	.set amdgpu.max_num_vgpr, 0
	.set amdgpu.max_num_agpr, 0
	.set amdgpu.max_num_sgpr, 0
	.section	.AMDGPU.csdata,"",@progbits
	.type	__hip_cuid_c284d69eb269ea5f,@object ; @__hip_cuid_c284d69eb269ea5f
	.section	.bss,"aw",@nobits
	.globl	__hip_cuid_c284d69eb269ea5f
__hip_cuid_c284d69eb269ea5f:
	.byte	0                               ; 0x0
	.size	__hip_cuid_c284d69eb269ea5f, 1

	.ident	"AMD clang version 22.0.0git (https://github.com/RadeonOpenCompute/llvm-project roc-7.2.4 26084 f58b06dce1f9c15707c5f808fd002e18c2accf7e)"
	.section	".note.GNU-stack","",@progbits
	.addrsig
	.addrsig_sym __hip_cuid_c284d69eb269ea5f
	.amdgpu_metadata
---
amdhsa.kernels:
  - .args:
      - .address_space:  global
        .offset:         0
        .size:           8
        .value_kind:     global_buffer
      - .address_space:  global
        .offset:         8
        .size:           8
        .value_kind:     global_buffer
      - .address_space:  global
        .offset:         16
        .size:           8
        .value_kind:     global_buffer
      - .address_space:  global
        .offset:         24
        .size:           8
        .value_kind:     global_buffer
      - .address_space:  global
        .offset:         32
        .size:           8
        .value_kind:     global_buffer
      - .address_space:  global
        .offset:         40
        .size:           8
        .value_kind:     global_buffer
    .group_segment_fixed_size: 3072
    .kernarg_segment_align: 8
    .kernarg_segment_size: 48
    .language:       OpenCL C
    .language_version:
      - 2
      - 0
    .max_flat_workgroup_size: 64
    .name:           _ZN8rajaperf4apps14Convection3DPAILm64EEEvPdS2_S2_S2_S2_S2_
    .private_segment_fixed_size: 0
    .sgpr_count:     22
    .sgpr_spill_count: 0
    .symbol:         _ZN8rajaperf4apps14Convection3DPAILm64EEEvPdS2_S2_S2_S2_S2_.kd
    .uniform_work_group_size: 1
    .uses_dynamic_stack: false
    .vgpr_count:     29
    .vgpr_spill_count: 0
    .wavefront_size: 32
  - .args:
      - .offset:         0
        .size:           56
        .value_kind:     by_value
      - .offset:         56
        .size:           1
        .value_kind:     by_value
    .group_segment_fixed_size: 3072
    .kernarg_segment_align: 8
    .kernarg_segment_size: 60
    .language:       OpenCL C
    .language_version:
      - 2
      - 0
    .max_flat_workgroup_size: 64
    .name:           _ZN4RAJA34launch_new_reduce_global_fcn_fixedIZN8rajaperf4apps14CONVECTION3DPA17runHipVariantImplILm64EEEvNS1_9VariantIDEEUlNS_14LaunchContextTINS_3hip33LaunchContextIndicesAndDimsPolicyINS7_14IndicesAndDimsILb0ELb0ELb0ELb0EEEEEEEE_Li64ENS_4expt15ForallParamPackIJEEEEEvT_T1_
    .private_segment_fixed_size: 0
    .sgpr_count:     18
    .sgpr_spill_count: 0
    .symbol:         _ZN4RAJA34launch_new_reduce_global_fcn_fixedIZN8rajaperf4apps14CONVECTION3DPA17runHipVariantImplILm64EEEvNS1_9VariantIDEEUlNS_14LaunchContextTINS_3hip33LaunchContextIndicesAndDimsPolicyINS7_14IndicesAndDimsILb0ELb0ELb0ELb0EEEEEEEE_Li64ENS_4expt15ForallParamPackIJEEEEEvT_T1_.kd
    .uniform_work_group_size: 1
    .uses_dynamic_stack: false
    .vgpr_count:     31
    .vgpr_spill_count: 0
    .wavefront_size: 32
amdhsa.target:   amdgcn-amd-amdhsa--gfx1250
amdhsa.version:
  - 1
  - 2
...

	.end_amdgpu_metadata
